;; amdgpu-corpus repo=ROCm/rocFFT kind=compiled arch=gfx906 opt=O3
	.text
	.amdgcn_target "amdgcn-amd-amdhsa--gfx906"
	.amdhsa_code_object_version 6
	.protected	fft_rtc_back_len308_factors_11_7_4_wgs_44_tpt_44_dp_ip_CI_unitstride_sbrr_R2C_dirReg ; -- Begin function fft_rtc_back_len308_factors_11_7_4_wgs_44_tpt_44_dp_ip_CI_unitstride_sbrr_R2C_dirReg
	.globl	fft_rtc_back_len308_factors_11_7_4_wgs_44_tpt_44_dp_ip_CI_unitstride_sbrr_R2C_dirReg
	.p2align	8
	.type	fft_rtc_back_len308_factors_11_7_4_wgs_44_tpt_44_dp_ip_CI_unitstride_sbrr_R2C_dirReg,@function
fft_rtc_back_len308_factors_11_7_4_wgs_44_tpt_44_dp_ip_CI_unitstride_sbrr_R2C_dirReg: ; @fft_rtc_back_len308_factors_11_7_4_wgs_44_tpt_44_dp_ip_CI_unitstride_sbrr_R2C_dirReg
; %bb.0:
	s_load_dwordx2 s[2:3], s[4:5], 0x50
	s_load_dwordx4 s[8:11], s[4:5], 0x0
	s_load_dwordx2 s[12:13], s[4:5], 0x18
	v_mul_u32_u24_e32 v1, 0x5d2, v0
	v_add_u32_sdwa v5, s6, v1 dst_sel:DWORD dst_unused:UNUSED_PAD src0_sel:DWORD src1_sel:WORD_1
	v_mov_b32_e32 v3, 0
	s_waitcnt lgkmcnt(0)
	v_cmp_lt_u64_e64 s[0:1], s[10:11], 2
	v_mov_b32_e32 v1, 0
	v_mov_b32_e32 v6, v3
	s_and_b64 vcc, exec, s[0:1]
	v_mov_b32_e32 v2, 0
	s_cbranch_vccnz .LBB0_8
; %bb.1:
	s_load_dwordx2 s[0:1], s[4:5], 0x10
	s_add_u32 s6, s12, 8
	s_addc_u32 s7, s13, 0
	v_mov_b32_e32 v1, 0
	v_mov_b32_e32 v2, 0
	s_waitcnt lgkmcnt(0)
	s_add_u32 s14, s0, 8
	s_addc_u32 s15, s1, 0
	s_mov_b64 s[16:17], 1
.LBB0_2:                                ; =>This Inner Loop Header: Depth=1
	s_load_dwordx2 s[18:19], s[14:15], 0x0
                                        ; implicit-def: $vgpr7_vgpr8
	s_waitcnt lgkmcnt(0)
	v_or_b32_e32 v4, s19, v6
	v_cmp_ne_u64_e32 vcc, 0, v[3:4]
	s_and_saveexec_b64 s[0:1], vcc
	s_xor_b64 s[20:21], exec, s[0:1]
	s_cbranch_execz .LBB0_4
; %bb.3:                                ;   in Loop: Header=BB0_2 Depth=1
	v_cvt_f32_u32_e32 v4, s18
	v_cvt_f32_u32_e32 v7, s19
	s_sub_u32 s0, 0, s18
	s_subb_u32 s1, 0, s19
	v_mac_f32_e32 v4, 0x4f800000, v7
	v_rcp_f32_e32 v4, v4
	v_mul_f32_e32 v4, 0x5f7ffffc, v4
	v_mul_f32_e32 v7, 0x2f800000, v4
	v_trunc_f32_e32 v7, v7
	v_mac_f32_e32 v4, 0xcf800000, v7
	v_cvt_u32_f32_e32 v7, v7
	v_cvt_u32_f32_e32 v4, v4
	v_mul_lo_u32 v8, s0, v7
	v_mul_hi_u32 v9, s0, v4
	v_mul_lo_u32 v11, s1, v4
	v_mul_lo_u32 v10, s0, v4
	v_add_u32_e32 v8, v9, v8
	v_add_u32_e32 v8, v8, v11
	v_mul_hi_u32 v9, v4, v10
	v_mul_lo_u32 v11, v4, v8
	v_mul_hi_u32 v13, v4, v8
	v_mul_hi_u32 v12, v7, v10
	v_mul_lo_u32 v10, v7, v10
	v_mul_hi_u32 v14, v7, v8
	v_add_co_u32_e32 v9, vcc, v9, v11
	v_addc_co_u32_e32 v11, vcc, 0, v13, vcc
	v_mul_lo_u32 v8, v7, v8
	v_add_co_u32_e32 v9, vcc, v9, v10
	v_addc_co_u32_e32 v9, vcc, v11, v12, vcc
	v_addc_co_u32_e32 v10, vcc, 0, v14, vcc
	v_add_co_u32_e32 v8, vcc, v9, v8
	v_addc_co_u32_e32 v9, vcc, 0, v10, vcc
	v_add_co_u32_e32 v4, vcc, v4, v8
	v_addc_co_u32_e32 v7, vcc, v7, v9, vcc
	v_mul_lo_u32 v8, s0, v7
	v_mul_hi_u32 v9, s0, v4
	v_mul_lo_u32 v10, s1, v4
	v_mul_lo_u32 v11, s0, v4
	v_add_u32_e32 v8, v9, v8
	v_add_u32_e32 v8, v8, v10
	v_mul_lo_u32 v12, v4, v8
	v_mul_hi_u32 v13, v4, v11
	v_mul_hi_u32 v14, v4, v8
	;; [unrolled: 1-line block ×3, first 2 shown]
	v_mul_lo_u32 v11, v7, v11
	v_mul_hi_u32 v9, v7, v8
	v_add_co_u32_e32 v12, vcc, v13, v12
	v_addc_co_u32_e32 v13, vcc, 0, v14, vcc
	v_mul_lo_u32 v8, v7, v8
	v_add_co_u32_e32 v11, vcc, v12, v11
	v_addc_co_u32_e32 v10, vcc, v13, v10, vcc
	v_addc_co_u32_e32 v9, vcc, 0, v9, vcc
	v_add_co_u32_e32 v8, vcc, v10, v8
	v_addc_co_u32_e32 v9, vcc, 0, v9, vcc
	v_add_co_u32_e32 v4, vcc, v4, v8
	v_addc_co_u32_e32 v9, vcc, v7, v9, vcc
	v_mad_u64_u32 v[7:8], s[0:1], v5, v9, 0
	v_mul_hi_u32 v10, v5, v4
	v_add_co_u32_e32 v11, vcc, v10, v7
	v_addc_co_u32_e32 v12, vcc, 0, v8, vcc
	v_mad_u64_u32 v[7:8], s[0:1], v6, v4, 0
	v_mad_u64_u32 v[9:10], s[0:1], v6, v9, 0
	v_add_co_u32_e32 v4, vcc, v11, v7
	v_addc_co_u32_e32 v4, vcc, v12, v8, vcc
	v_addc_co_u32_e32 v7, vcc, 0, v10, vcc
	v_add_co_u32_e32 v4, vcc, v4, v9
	v_addc_co_u32_e32 v9, vcc, 0, v7, vcc
	v_mul_lo_u32 v10, s19, v4
	v_mul_lo_u32 v11, s18, v9
	v_mad_u64_u32 v[7:8], s[0:1], s18, v4, 0
	v_add3_u32 v8, v8, v11, v10
	v_sub_u32_e32 v10, v6, v8
	v_mov_b32_e32 v11, s19
	v_sub_co_u32_e32 v7, vcc, v5, v7
	v_subb_co_u32_e64 v10, s[0:1], v10, v11, vcc
	v_subrev_co_u32_e64 v11, s[0:1], s18, v7
	v_subbrev_co_u32_e64 v10, s[0:1], 0, v10, s[0:1]
	v_cmp_le_u32_e64 s[0:1], s19, v10
	v_cndmask_b32_e64 v12, 0, -1, s[0:1]
	v_cmp_le_u32_e64 s[0:1], s18, v11
	v_cndmask_b32_e64 v11, 0, -1, s[0:1]
	v_cmp_eq_u32_e64 s[0:1], s19, v10
	v_cndmask_b32_e64 v10, v12, v11, s[0:1]
	v_add_co_u32_e64 v11, s[0:1], 2, v4
	v_addc_co_u32_e64 v12, s[0:1], 0, v9, s[0:1]
	v_add_co_u32_e64 v13, s[0:1], 1, v4
	v_addc_co_u32_e64 v14, s[0:1], 0, v9, s[0:1]
	v_subb_co_u32_e32 v8, vcc, v6, v8, vcc
	v_cmp_ne_u32_e64 s[0:1], 0, v10
	v_cmp_le_u32_e32 vcc, s19, v8
	v_cndmask_b32_e64 v10, v14, v12, s[0:1]
	v_cndmask_b32_e64 v12, 0, -1, vcc
	v_cmp_le_u32_e32 vcc, s18, v7
	v_cndmask_b32_e64 v7, 0, -1, vcc
	v_cmp_eq_u32_e32 vcc, s19, v8
	v_cndmask_b32_e32 v7, v12, v7, vcc
	v_cmp_ne_u32_e32 vcc, 0, v7
	v_cndmask_b32_e64 v7, v13, v11, s[0:1]
	v_cndmask_b32_e32 v8, v9, v10, vcc
	v_cndmask_b32_e32 v7, v4, v7, vcc
.LBB0_4:                                ;   in Loop: Header=BB0_2 Depth=1
	s_andn2_saveexec_b64 s[0:1], s[20:21]
	s_cbranch_execz .LBB0_6
; %bb.5:                                ;   in Loop: Header=BB0_2 Depth=1
	v_cvt_f32_u32_e32 v4, s18
	s_sub_i32 s20, 0, s18
	v_rcp_iflag_f32_e32 v4, v4
	v_mul_f32_e32 v4, 0x4f7ffffe, v4
	v_cvt_u32_f32_e32 v4, v4
	v_mul_lo_u32 v7, s20, v4
	v_mul_hi_u32 v7, v4, v7
	v_add_u32_e32 v4, v4, v7
	v_mul_hi_u32 v4, v5, v4
	v_mul_lo_u32 v7, v4, s18
	v_add_u32_e32 v8, 1, v4
	v_sub_u32_e32 v7, v5, v7
	v_subrev_u32_e32 v9, s18, v7
	v_cmp_le_u32_e32 vcc, s18, v7
	v_cndmask_b32_e32 v7, v7, v9, vcc
	v_cndmask_b32_e32 v4, v4, v8, vcc
	v_add_u32_e32 v8, 1, v4
	v_cmp_le_u32_e32 vcc, s18, v7
	v_cndmask_b32_e32 v7, v4, v8, vcc
	v_mov_b32_e32 v8, v3
.LBB0_6:                                ;   in Loop: Header=BB0_2 Depth=1
	s_or_b64 exec, exec, s[0:1]
	v_mul_lo_u32 v4, v8, s18
	v_mul_lo_u32 v11, v7, s19
	v_mad_u64_u32 v[9:10], s[0:1], v7, s18, 0
	s_load_dwordx2 s[0:1], s[6:7], 0x0
	s_add_u32 s16, s16, 1
	v_add3_u32 v4, v10, v11, v4
	v_sub_co_u32_e32 v5, vcc, v5, v9
	v_subb_co_u32_e32 v4, vcc, v6, v4, vcc
	s_waitcnt lgkmcnt(0)
	v_mul_lo_u32 v4, s0, v4
	v_mul_lo_u32 v6, s1, v5
	v_mad_u64_u32 v[1:2], s[0:1], s0, v5, v[1:2]
	s_addc_u32 s17, s17, 0
	s_add_u32 s6, s6, 8
	v_add3_u32 v2, v6, v2, v4
	v_mov_b32_e32 v4, s10
	v_mov_b32_e32 v5, s11
	s_addc_u32 s7, s7, 0
	v_cmp_ge_u64_e32 vcc, s[16:17], v[4:5]
	s_add_u32 s14, s14, 8
	s_addc_u32 s15, s15, 0
	s_cbranch_vccnz .LBB0_9
; %bb.7:                                ;   in Loop: Header=BB0_2 Depth=1
	v_mov_b32_e32 v5, v7
	v_mov_b32_e32 v6, v8
	s_branch .LBB0_2
.LBB0_8:
	v_mov_b32_e32 v8, v6
	v_mov_b32_e32 v7, v5
.LBB0_9:
	s_lshl_b64 s[0:1], s[10:11], 3
	s_add_u32 s0, s12, s0
	s_addc_u32 s1, s13, s1
	s_load_dwordx2 s[6:7], s[0:1], 0x0
	s_load_dwordx2 s[10:11], s[4:5], 0x20
	s_waitcnt lgkmcnt(0)
	v_mad_u64_u32 v[1:2], s[0:1], s6, v7, v[1:2]
	s_mov_b32 s0, 0x5d1745e
	v_mul_lo_u32 v3, s6, v8
	v_mul_lo_u32 v4, s7, v7
	v_mul_hi_u32 v5, v0, s0
	v_cmp_gt_u64_e64 s[0:1], s[10:11], v[7:8]
	v_add3_u32 v2, v4, v2, v3
	v_mul_u32_u24_e32 v3, 44, v5
	v_sub_u32_e32 v56, v0, v3
	v_lshlrev_b64 v[58:59], 4, v[1:2]
	v_lshl_add_u32 v112, v56, 4, 0
	s_and_saveexec_b64 s[4:5], s[0:1]
	s_cbranch_execz .LBB0_11
; %bb.10:
	v_mov_b32_e32 v57, 0
	v_mov_b32_e32 v0, s3
	v_add_co_u32_e32 v2, vcc, s2, v58
	v_addc_co_u32_e32 v3, vcc, v0, v59, vcc
	v_lshlrev_b64 v[0:1], 4, v[56:57]
	v_add_co_u32_e32 v28, vcc, v2, v0
	v_addc_co_u32_e32 v29, vcc, v3, v1, vcc
	v_add_co_u32_e32 v30, vcc, 0x1000, v28
	global_load_dwordx4 v[0:3], v[28:29], off
	global_load_dwordx4 v[4:7], v[28:29], off offset:704
	global_load_dwordx4 v[8:11], v[28:29], off offset:1408
	;; [unrolled: 1-line block ×3, first 2 shown]
	v_addc_co_u32_e32 v31, vcc, 0, v29, vcc
	global_load_dwordx4 v[16:19], v[28:29], off offset:2816
	global_load_dwordx4 v[20:23], v[28:29], off offset:3520
	;; [unrolled: 1-line block ×3, first 2 shown]
	s_waitcnt vmcnt(6)
	ds_write_b128 v112, v[0:3]
	s_waitcnt vmcnt(5)
	ds_write_b128 v112, v[4:7] offset:704
	s_waitcnt vmcnt(4)
	ds_write_b128 v112, v[8:11] offset:1408
	;; [unrolled: 2-line block ×6, first 2 shown]
.LBB0_11:
	s_or_b64 exec, exec, s[4:5]
	s_waitcnt lgkmcnt(0)
	; wave barrier
	s_waitcnt lgkmcnt(0)
	ds_read_b128 v[4:7], v112 offset:4480
	ds_read_b128 v[40:43], v112 offset:448
	ds_read_b128 v[12:15], v112
	ds_read_b128 v[8:11], v112 offset:4032
	ds_read_b128 v[44:47], v112 offset:896
	s_mov_b32 s6, 0xbb3a28a1
	s_mov_b32 s7, 0xbfe82f19
	s_waitcnt lgkmcnt(3)
	v_add_f64 v[62:63], v[42:43], -v[6:7]
	v_add_f64 v[70:71], v[42:43], v[6:7]
	v_add_f64 v[60:61], v[40:41], v[4:5]
	s_waitcnt lgkmcnt(0)
	v_add_f64 v[66:67], v[46:47], -v[10:11]
	s_mov_b32 s4, 0x7f775887
	s_mov_b32 s5, 0xbfe4f49e
	ds_read_b128 v[28:31], v112 offset:1344
	ds_read_b128 v[16:19], v112 offset:3584
	v_add_f64 v[90:91], v[40:41], -v[4:5]
	v_mul_f64 v[100:101], v[62:63], s[6:7]
	v_add_f64 v[68:69], v[46:47], v[10:11]
	v_mul_f64 v[50:51], v[70:71], s[4:5]
	s_mov_b32 s20, 0x43842ef
	s_mov_b32 s21, 0x3fefac9e
	v_add_f64 v[64:65], v[44:45], v[8:9]
	v_mul_f64 v[54:55], v[66:67], s[20:21]
	s_waitcnt lgkmcnt(0)
	v_add_f64 v[72:73], v[30:31], -v[18:19]
	v_fma_f64 v[0:1], v[60:61], s[4:5], -v[100:101]
	s_mov_b32 s10, 0x640f44db
	s_mov_b32 s11, 0xbfc2375f
	v_add_f64 v[86:87], v[44:45], -v[8:9]
	v_mul_f64 v[48:49], v[68:69], s[10:11]
	v_fma_f64 v[20:21], v[90:91], s[6:7], v[50:51]
	s_mov_b32 s18, 0xf8bb580b
	s_mov_b32 s19, 0xbfe14ced
	v_fma_f64 v[2:3], v[64:65], s[10:11], -v[54:55]
	v_add_f64 v[0:1], v[12:13], v[0:1]
	v_add_f64 v[76:77], v[30:31], v[18:19]
	;; [unrolled: 1-line block ×3, first 2 shown]
	v_mul_f64 v[102:103], v[72:73], s[18:19]
	v_fma_f64 v[24:25], v[86:87], s[20:21], v[48:49]
	v_add_f64 v[26:27], v[14:15], v[20:21]
	ds_read_b128 v[20:23], v112 offset:3136
	ds_read_b128 v[32:35], v112 offset:1792
	s_mov_b32 s14, 0x8764f0ba
	s_mov_b32 s15, 0x3feaeb8c
	v_add_f64 v[0:1], v[2:3], v[0:1]
	v_add_f64 v[88:89], v[28:29], -v[16:17]
	v_mul_f64 v[104:105], v[76:77], s[14:15]
	v_fma_f64 v[82:83], v[74:75], s[14:15], -v[102:103]
	s_waitcnt lgkmcnt(0)
	v_add_f64 v[92:93], v[34:35], -v[22:23]
	v_add_f64 v[80:81], v[34:35], v[22:23]
	v_add_f64 v[2:3], v[24:25], v[26:27]
	ds_read_b128 v[24:27], v112 offset:2240
	ds_read_b128 v[36:39], v112 offset:2688
	s_mov_b32 s16, 0x9bcd5057
	s_mov_b32 s24, 0xfd768dbf
	;; [unrolled: 1-line block ×4, first 2 shown]
	v_fma_f64 v[84:85], v[88:89], s[18:19], v[104:105]
	v_add_f64 v[78:79], v[32:33], v[20:21]
	v_mul_f64 v[52:53], v[92:93], s[24:25]
	v_add_f64 v[96:97], v[32:33], -v[20:21]
	v_mul_f64 v[110:111], v[80:81], s[16:17]
	v_add_f64 v[0:1], v[82:83], v[0:1]
	s_waitcnt lgkmcnt(0)
	v_add_f64 v[94:95], v[26:27], -v[38:39]
	v_add_f64 v[82:83], v[26:27], v[38:39]
	s_mov_b32 s22, 0xd9c712b6
	s_mov_b32 s23, 0x3fda9628
	;; [unrolled: 1-line block ×4, first 2 shown]
	v_add_f64 v[2:3], v[84:85], v[2:3]
	v_fma_f64 v[113:114], v[78:79], s[16:17], -v[52:53]
	v_fma_f64 v[115:116], v[96:97], s[24:25], v[110:111]
	v_add_f64 v[84:85], v[24:25], v[36:37]
	v_mul_f64 v[106:107], v[94:95], s[26:27]
	v_add_f64 v[98:99], v[24:25], -v[36:37]
	v_mul_f64 v[108:109], v[82:83], s[22:23]
	v_cmp_gt_u32_e32 vcc, 28, v56
	v_add_f64 v[0:1], v[113:114], v[0:1]
	v_add_f64 v[2:3], v[115:116], v[2:3]
	; wave barrier
	v_fma_f64 v[113:114], v[84:85], s[22:23], -v[106:107]
	v_fma_f64 v[115:116], v[98:99], s[26:27], v[108:109]
	v_add_f64 v[0:1], v[113:114], v[0:1]
	v_add_f64 v[2:3], v[115:116], v[2:3]
	s_and_saveexec_b64 s[12:13], vcc
	s_cbranch_execz .LBB0_13
; %bb.12:
	v_mul_f64 v[113:114], v[90:91], s[24:25]
	v_mul_f64 v[115:116], v[62:63], s[24:25]
	s_mov_b32 s31, 0x3fe14ced
	s_mov_b32 s30, s18
	v_mul_f64 v[123:124], v[86:87], s[30:31]
	v_mul_f64 v[127:128], v[66:67], s[30:31]
	;; [unrolled: 1-line block ×4, first 2 shown]
	v_fma_f64 v[125:126], v[70:71], s[16:17], v[113:114]
	v_fma_f64 v[129:130], v[60:61], s[16:17], -v[115:116]
	v_fma_f64 v[113:114], v[70:71], s[16:17], -v[113:114]
	v_mul_f64 v[121:122], v[96:97], s[26:27]
	v_fma_f64 v[135:136], v[68:69], s[14:15], v[123:124]
	v_fma_f64 v[137:138], v[64:65], s[14:15], -v[127:128]
	v_mul_f64 v[131:132], v[92:93], s[26:27]
	v_mul_f64 v[133:134], v[90:91], s[6:7]
	v_add_f64 v[125:126], v[14:15], v[125:126]
	v_add_f64 v[129:130], v[12:13], v[129:130]
	v_fma_f64 v[143:144], v[76:77], s[4:5], v[117:118]
	v_fma_f64 v[115:116], v[60:61], s[16:17], v[115:116]
	v_fma_f64 v[123:124], v[68:69], s[14:15], -v[123:124]
	v_add_f64 v[113:114], v[14:15], v[113:114]
	v_mul_f64 v[139:140], v[86:87], s[20:21]
	v_fma_f64 v[127:128], v[64:65], s[14:15], v[127:128]
	v_add_f64 v[125:126], v[135:136], v[125:126]
	v_fma_f64 v[135:136], v[74:75], s[4:5], -v[119:120]
	v_add_f64 v[129:130], v[137:138], v[129:130]
	v_fma_f64 v[137:138], v[80:81], s[22:23], v[121:122]
	v_add_f64 v[115:116], v[12:13], v[115:116]
	v_fma_f64 v[117:118], v[76:77], s[4:5], -v[117:118]
	v_add_f64 v[50:51], v[50:51], -v[133:134]
	v_add_f64 v[113:114], v[123:124], v[113:114]
	v_add_f64 v[125:126], v[143:144], v[125:126]
	v_fma_f64 v[143:144], v[78:79], s[22:23], -v[131:132]
	v_add_f64 v[129:130], v[135:136], v[129:130]
	s_mov_b32 s29, 0xbfefac9e
	s_mov_b32 s28, s20
	v_mul_f64 v[141:142], v[98:99], s[28:29]
	v_mul_f64 v[135:136], v[94:95], s[28:29]
	v_add_f64 v[115:116], v[127:128], v[115:116]
	v_add_f64 v[123:124], v[137:138], v[125:126]
	v_fma_f64 v[119:120], v[74:75], s[4:5], v[119:120]
	v_add_f64 v[125:126], v[143:144], v[129:130]
	v_mul_f64 v[129:130], v[88:89], s[18:19]
	v_add_f64 v[48:49], v[48:49], -v[139:140]
	v_add_f64 v[50:51], v[14:15], v[50:51]
	v_add_f64 v[113:114], v[117:118], v[113:114]
	v_fma_f64 v[117:118], v[80:81], s[22:23], -v[121:122]
	v_mul_f64 v[121:122], v[60:61], s[4:5]
	v_fma_f64 v[127:128], v[82:83], s[10:11], v[141:142]
	v_fma_f64 v[133:134], v[84:85], s[10:11], -v[135:136]
	v_add_f64 v[115:116], v[119:120], v[115:116]
	v_fma_f64 v[119:120], v[78:79], s[22:23], v[131:132]
	v_add_f64 v[104:105], v[104:105], -v[129:130]
	v_mul_f64 v[129:130], v[96:97], s[24:25]
	v_add_f64 v[131:132], v[48:49], v[50:51]
	v_add_f64 v[113:114], v[117:118], v[113:114]
	v_mul_f64 v[117:118], v[64:65], s[10:11]
	v_add_f64 v[100:101], v[121:122], v[100:101]
	v_mul_f64 v[121:122], v[90:91], s[28:29]
	s_mov_b32 s35, 0x3fd207e7
	s_mov_b32 s34, s24
	v_add_f64 v[50:51], v[127:128], v[123:124]
	v_add_f64 v[48:49], v[133:134], v[125:126]
	;; [unrolled: 1-line block ×3, first 2 shown]
	v_add_f64 v[110:111], v[110:111], -v[129:130]
	v_add_f64 v[104:105], v[104:105], v[131:132]
	v_mul_f64 v[119:120], v[98:99], s[26:27]
	v_mul_f64 v[123:124], v[84:85], s[22:23]
	v_add_f64 v[54:55], v[117:118], v[54:55]
	v_mul_f64 v[117:118], v[74:75], s[14:15]
	v_add_f64 v[100:101], v[12:13], v[100:101]
	v_mul_f64 v[125:126], v[86:87], s[34:35]
	v_fma_f64 v[127:128], v[70:71], s[10:11], v[121:122]
	v_add_f64 v[104:105], v[110:111], v[104:105]
	v_add_f64 v[108:109], v[108:109], -v[119:120]
	v_mul_f64 v[110:111], v[78:79], s[16:17]
	v_mul_f64 v[119:120], v[88:89], s[26:27]
	v_add_f64 v[102:103], v[117:118], v[102:103]
	v_add_f64 v[54:55], v[54:55], v[100:101]
	;; [unrolled: 1-line block ×3, first 2 shown]
	v_fma_f64 v[106:107], v[68:69], s[16:17], v[125:126]
	v_add_f64 v[117:118], v[14:15], v[127:128]
	v_fma_f64 v[123:124], v[82:83], s[10:11], -v[141:142]
	v_mul_f64 v[127:128], v[62:63], s[28:29]
	v_add_f64 v[52:53], v[110:111], v[52:53]
	v_fma_f64 v[110:111], v[84:85], s[10:11], v[135:136]
	v_add_f64 v[102:103], v[102:103], v[54:55]
	v_mul_f64 v[129:130], v[96:97], s[18:19]
	v_mul_f64 v[131:132], v[66:67], s[34:35]
	v_add_f64 v[106:107], v[106:107], v[117:118]
	v_fma_f64 v[117:118], v[76:77], s[22:23], v[119:120]
	v_fma_f64 v[133:134], v[60:61], s[10:11], -v[127:128]
	v_add_f64 v[54:55], v[123:124], v[113:114]
	v_mul_f64 v[123:124], v[72:73], s[26:27]
	v_add_f64 v[113:114], v[52:53], v[102:103]
	v_add_f64 v[52:53], v[110:111], v[115:116]
	v_fma_f64 v[110:111], v[80:81], s[14:15], v[129:130]
	v_fma_f64 v[115:116], v[70:71], s[10:11], -v[121:122]
	v_add_f64 v[106:107], v[117:118], v[106:107]
	v_fma_f64 v[117:118], v[64:65], s[16:17], -v[131:132]
	v_add_f64 v[121:122], v[12:13], v[133:134]
	v_add_f64 v[102:103], v[108:109], v[104:105]
	v_fma_f64 v[104:105], v[68:69], s[16:17], -v[125:126]
	v_add_f64 v[100:101], v[100:101], v[113:114]
	s_mov_b32 s27, 0xbfed1bb4
	v_add_f64 v[108:109], v[14:15], v[115:116]
	v_add_f64 v[106:107], v[110:111], v[106:107]
	v_fma_f64 v[110:111], v[60:61], s[10:11], v[127:128]
	v_add_f64 v[113:114], v[117:118], v[121:122]
	v_fma_f64 v[115:116], v[74:75], s[22:23], -v[123:124]
	v_fma_f64 v[117:118], v[76:77], s[22:23], -v[119:120]
	v_fma_f64 v[121:122], v[64:65], s[16:17], v[131:132]
	v_mul_f64 v[119:120], v[90:91], s[26:27]
	v_add_f64 v[104:105], v[104:105], v[108:109]
	v_mul_f64 v[108:109], v[92:93], s[18:19]
	v_add_f64 v[110:111], v[12:13], v[110:111]
	v_fma_f64 v[123:124], v[74:75], s[22:23], v[123:124]
	v_add_f64 v[113:114], v[115:116], v[113:114]
	v_mul_f64 v[115:116], v[98:99], s[6:7]
	v_mul_f64 v[125:126], v[86:87], s[6:7]
	v_fma_f64 v[127:128], v[70:71], s[22:23], v[119:120]
	v_add_f64 v[104:105], v[117:118], v[104:105]
	v_fma_f64 v[117:118], v[78:79], s[14:15], -v[108:109]
	v_add_f64 v[110:111], v[121:122], v[110:111]
	v_mul_f64 v[121:122], v[94:95], s[6:7]
	v_fma_f64 v[129:130], v[80:81], s[14:15], -v[129:130]
	v_mul_f64 v[131:132], v[88:89], s[34:35]
	v_fma_f64 v[133:134], v[68:69], s[4:5], v[125:126]
	v_add_f64 v[127:128], v[14:15], v[127:128]
	v_fma_f64 v[108:109], v[78:79], s[14:15], v[108:109]
	v_add_f64 v[113:114], v[117:118], v[113:114]
	v_add_f64 v[110:111], v[123:124], v[110:111]
	v_fma_f64 v[123:124], v[84:85], s[4:5], -v[121:122]
	v_fma_f64 v[117:118], v[82:83], s[4:5], v[115:116]
	v_add_f64 v[129:130], v[129:130], v[104:105]
	v_fma_f64 v[135:136], v[76:77], s[16:17], v[131:132]
	v_add_f64 v[127:128], v[133:134], v[127:128]
	v_mul_f64 v[133:134], v[96:97], s[20:21]
	v_fma_f64 v[115:116], v[82:83], s[4:5], -v[115:116]
	v_add_f64 v[108:109], v[108:109], v[110:111]
	v_add_f64 v[104:105], v[123:124], v[113:114]
	;; [unrolled: 1-line block ×5, first 2 shown]
	v_fma_f64 v[117:118], v[84:85], s[4:5], v[121:122]
	v_mul_f64 v[110:111], v[62:63], s[26:27]
	v_add_f64 v[121:122], v[135:136], v[127:128]
	v_fma_f64 v[127:128], v[80:81], s[10:11], v[133:134]
	v_add_f64 v[42:43], v[115:116], v[129:130]
	v_add_f64 v[46:47], v[113:114], v[46:47]
	;; [unrolled: 1-line block ×3, first 2 shown]
	v_mul_f64 v[115:116], v[66:67], s[6:7]
	v_add_f64 v[40:41], v[117:118], v[108:109]
	v_fma_f64 v[129:130], v[60:61], s[22:23], -v[110:111]
	v_fma_f64 v[117:118], v[70:71], s[22:23], -v[119:120]
	v_add_f64 v[108:109], v[127:128], v[121:122]
	v_mul_f64 v[121:122], v[72:73], s[34:35]
	v_add_f64 v[30:31], v[46:47], v[30:31]
	v_add_f64 v[44:45], v[44:45], v[28:29]
	v_fma_f64 v[113:114], v[64:65], s[4:5], -v[115:116]
	v_fma_f64 v[123:124], v[68:69], s[4:5], -v[125:126]
	v_add_f64 v[119:120], v[12:13], v[129:130]
	v_add_f64 v[117:118], v[14:15], v[117:118]
	v_fma_f64 v[46:47], v[64:65], s[4:5], v[115:116]
	v_fma_f64 v[115:116], v[76:77], s[16:17], -v[131:132]
	v_add_f64 v[30:31], v[30:31], v[34:35]
	v_add_f64 v[32:33], v[44:45], v[32:33]
	v_mul_f64 v[90:91], v[90:91], s[18:19]
	v_mul_f64 v[44:45], v[62:63], s[18:19]
	v_add_f64 v[28:29], v[113:114], v[119:120]
	v_fma_f64 v[113:114], v[74:75], s[16:17], -v[121:122]
	v_add_f64 v[117:118], v[123:124], v[117:118]
	v_fma_f64 v[110:111], v[60:61], s[22:23], v[110:111]
	v_add_f64 v[26:27], v[30:31], v[26:27]
	v_add_f64 v[24:25], v[32:33], v[24:25]
	v_mul_f64 v[86:87], v[86:87], s[26:27]
	v_mul_f64 v[66:67], v[66:67], s[26:27]
	v_fma_f64 v[30:31], v[60:61], s[14:15], v[44:45]
	v_add_f64 v[28:29], v[113:114], v[28:29]
	v_fma_f64 v[113:114], v[80:81], s[10:11], -v[133:134]
	v_add_f64 v[115:116], v[115:116], v[117:118]
	v_fma_f64 v[117:118], v[70:71], s[14:15], v[90:91]
	v_fma_f64 v[70:71], v[70:71], s[14:15], -v[90:91]
	v_fma_f64 v[44:45], v[60:61], s[14:15], -v[44:45]
	v_add_f64 v[26:27], v[26:27], v[38:39]
	v_add_f64 v[24:25], v[24:25], v[36:37]
	v_add_f64 v[110:111], v[12:13], v[110:111]
	v_mul_f64 v[88:89], v[88:89], s[28:29]
	v_add_f64 v[113:114], v[113:114], v[115:116]
	v_fma_f64 v[115:116], v[68:69], s[22:23], v[86:87]
	v_add_f64 v[117:118], v[14:15], v[117:118]
	v_mul_f64 v[32:33], v[72:73], s[28:29]
	v_fma_f64 v[60:61], v[68:69], s[22:23], -v[86:87]
	v_add_f64 v[14:15], v[14:15], v[70:71]
	v_fma_f64 v[68:69], v[64:65], s[22:23], v[66:67]
	v_add_f64 v[30:31], v[12:13], v[30:31]
	v_fma_f64 v[36:37], v[64:65], s[22:23], -v[66:67]
	v_add_f64 v[12:13], v[12:13], v[44:45]
	v_add_f64 v[22:23], v[26:27], v[22:23]
	;; [unrolled: 1-line block ×3, first 2 shown]
	v_mul_f64 v[119:120], v[92:93], s[20:21]
	v_add_f64 v[46:47], v[46:47], v[110:111]
	v_fma_f64 v[121:122], v[74:75], s[16:17], v[121:122]
	v_mul_f64 v[96:97], v[96:97], s[6:7]
	v_mul_f64 v[92:93], v[92:93], s[6:7]
	v_fma_f64 v[38:39], v[76:77], s[10:11], -v[88:89]
	v_add_f64 v[14:15], v[60:61], v[14:15]
	v_fma_f64 v[44:45], v[74:75], s[10:11], v[32:33]
	v_add_f64 v[24:25], v[68:69], v[30:31]
	v_mul_f64 v[110:111], v[98:99], s[30:31]
	v_add_f64 v[115:116], v[115:116], v[117:118]
	v_fma_f64 v[117:118], v[76:77], s[10:11], v[88:89]
	v_fma_f64 v[26:27], v[74:75], s[10:11], -v[32:33]
	v_add_f64 v[12:13], v[36:37], v[12:13]
	v_add_f64 v[18:19], v[22:23], v[18:19]
	;; [unrolled: 1-line block ×4, first 2 shown]
	v_mul_f64 v[121:122], v[94:95], s[30:31]
	v_mul_f64 v[98:99], v[98:99], s[24:25]
	;; [unrolled: 1-line block ×3, first 2 shown]
	v_fma_f64 v[30:31], v[80:81], s[4:5], -v[96:97]
	v_add_f64 v[14:15], v[38:39], v[14:15]
	v_fma_f64 v[32:33], v[78:79], s[4:5], v[92:93]
	v_add_f64 v[20:21], v[44:45], v[24:25]
	v_fma_f64 v[123:124], v[78:79], s[10:11], -v[119:120]
	v_fma_f64 v[125:126], v[82:83], s[14:15], v[110:111]
	v_fma_f64 v[119:120], v[78:79], s[10:11], v[119:120]
	v_fma_f64 v[110:111], v[82:83], s[14:15], -v[110:111]
	v_fma_f64 v[34:35], v[80:81], s[4:5], v[96:97]
	v_add_f64 v[62:63], v[117:118], v[115:116]
	v_fma_f64 v[22:23], v[78:79], s[4:5], -v[92:93]
	v_add_f64 v[12:13], v[26:27], v[12:13]
	v_add_f64 v[10:11], v[18:19], v[10:11]
	;; [unrolled: 1-line block ×3, first 2 shown]
	v_fma_f64 v[24:25], v[82:83], s[16:17], -v[98:99]
	v_add_f64 v[14:15], v[30:31], v[14:15]
	v_fma_f64 v[26:27], v[84:85], s[16:17], v[94:95]
	v_add_f64 v[18:19], v[32:33], v[20:21]
	v_add_f64 v[123:124], v[123:124], v[28:29]
	;; [unrolled: 1-line block ×5, first 2 shown]
	v_fma_f64 v[110:111], v[84:85], s[14:15], v[121:122]
	v_fma_f64 v[119:120], v[84:85], s[14:15], -v[121:122]
	v_fma_f64 v[20:21], v[82:83], s[16:17], v[98:99]
	v_add_f64 v[30:31], v[34:35], v[62:63]
	v_fma_f64 v[32:33], v[84:85], s[16:17], -v[94:95]
	v_add_f64 v[22:23], v[22:23], v[12:13]
	v_add_f64 v[12:13], v[10:11], v[6:7]
	;; [unrolled: 1-line block ×6, first 2 shown]
	s_movk_i32 s4, 0xa0
	v_mad_u32_u24 v4, v56, s4, v112
	v_add_f64 v[26:27], v[119:120], v[123:124]
	v_add_f64 v[16:17], v[20:21], v[30:31]
	;; [unrolled: 1-line block ×3, first 2 shown]
	ds_write_b128 v4, v[10:13]
	ds_write_b128 v4, v[6:9] offset:16
	ds_write_b128 v4, v[44:47] offset:32
	;; [unrolled: 1-line block ×10, first 2 shown]
.LBB0_13:
	s_or_b64 exec, exec, s[12:13]
	s_movk_i32 s4, 0x75
	v_mul_lo_u16_sdwa v4, v56, s4 dst_sel:DWORD dst_unused:UNUSED_PAD src0_sel:BYTE_0 src1_sel:DWORD
	v_sub_u16_sdwa v5, v56, v4 dst_sel:DWORD dst_unused:UNUSED_PAD src0_sel:DWORD src1_sel:BYTE_1
	v_lshrrev_b16_e32 v5, 1, v5
	v_and_b32_e32 v5, 0x7f, v5
	v_add_u16_sdwa v4, v5, v4 dst_sel:DWORD dst_unused:UNUSED_PAD src0_sel:DWORD src1_sel:BYTE_1
	v_lshrrev_b16_e32 v57, 3, v4
	v_mul_lo_u16_e32 v4, 11, v57
	v_sub_u16_e32 v60, v56, v4
	v_mov_b32_e32 v4, 6
	v_mul_u32_u24_sdwa v4, v60, v4 dst_sel:DWORD dst_unused:UNUSED_PAD src0_sel:BYTE_0 src1_sel:DWORD
	v_lshlrev_b32_e32 v28, 4, v4
	s_waitcnt lgkmcnt(0)
	; wave barrier
	s_waitcnt lgkmcnt(0)
	global_load_dwordx4 v[4:7], v28, s[8:9]
	global_load_dwordx4 v[8:11], v28, s[8:9] offset:16
	global_load_dwordx4 v[12:15], v28, s[8:9] offset:32
	global_load_dwordx4 v[16:19], v28, s[8:9] offset:48
	global_load_dwordx4 v[20:23], v28, s[8:9] offset:80
	global_load_dwordx4 v[24:27], v28, s[8:9] offset:64
	ds_read_b128 v[28:31], v112
	ds_read_b128 v[32:35], v112 offset:704
	ds_read_b128 v[36:39], v112 offset:1408
	;; [unrolled: 1-line block ×6, first 2 shown]
	v_mov_b32_e32 v61, 4
	v_lshlrev_b32_sdwa v72, v61, v60 dst_sel:DWORD dst_unused:UNUSED_PAD src0_sel:DWORD src1_sel:BYTE_0
	s_mov_b32 s6, 0x37e14327
	s_mov_b32 s4, 0x36b3c0b5
	;; [unrolled: 1-line block ×16, first 2 shown]
	v_mul_u32_u24_e32 v57, 0x4d0, v57
	s_waitcnt lgkmcnt(0)
	; wave barrier
	s_waitcnt lgkmcnt(0)
	v_cmp_gt_u32_e32 vcc, 33, v56
	s_waitcnt vmcnt(5)
	v_mul_f64 v[60:61], v[34:35], v[6:7]
	v_mul_f64 v[6:7], v[32:33], v[6:7]
	s_waitcnt vmcnt(4)
	v_mul_f64 v[62:63], v[38:39], v[10:11]
	v_mul_f64 v[10:11], v[36:37], v[10:11]
	;; [unrolled: 3-line block ×5, first 2 shown]
	v_mul_f64 v[66:67], v[46:47], v[18:19]
	v_mul_f64 v[18:19], v[44:45], v[18:19]
	v_fma_f64 v[32:33], v[32:33], v[4:5], v[60:61]
	v_fma_f64 v[4:5], v[34:35], v[4:5], -v[6:7]
	v_fma_f64 v[6:7], v[36:37], v[8:9], v[62:63]
	v_fma_f64 v[8:9], v[38:39], v[8:9], -v[10:11]
	v_fma_f64 v[10:11], v[52:53], v[20:21], v[68:69]
	v_fma_f64 v[20:21], v[54:55], v[20:21], -v[22:23]
	v_fma_f64 v[22:23], v[40:41], v[12:13], v[64:65]
	v_fma_f64 v[12:13], v[42:43], v[12:13], -v[14:15]
	v_fma_f64 v[14:15], v[48:49], v[24:25], v[70:71]
	v_fma_f64 v[24:25], v[50:51], v[24:25], -v[26:27]
	v_fma_f64 v[26:27], v[44:45], v[16:17], v[66:67]
	v_fma_f64 v[16:17], v[46:47], v[16:17], -v[18:19]
	v_add_f64 v[18:19], v[32:33], v[10:11]
	v_add_f64 v[34:35], v[4:5], v[20:21]
	v_add_f64 v[10:11], v[32:33], -v[10:11]
	v_add_f64 v[4:5], v[4:5], -v[20:21]
	v_add_f64 v[20:21], v[6:7], v[14:15]
	v_add_f64 v[32:33], v[8:9], v[24:25]
	v_add_f64 v[6:7], v[6:7], -v[14:15]
	v_add_f64 v[8:9], v[8:9], -v[24:25]
	;; [unrolled: 4-line block ×4, first 2 shown]
	v_add_f64 v[18:19], v[18:19], -v[14:15]
	v_add_f64 v[34:35], v[34:35], -v[24:25]
	;; [unrolled: 1-line block ×4, first 2 shown]
	v_add_f64 v[40:41], v[22:23], v[6:7]
	v_add_f64 v[42:43], v[12:13], v[8:9]
	v_add_f64 v[44:45], v[22:23], -v[6:7]
	v_add_f64 v[46:47], v[12:13], -v[8:9]
	v_add_f64 v[14:15], v[14:15], v[16:17]
	v_add_f64 v[24:25], v[24:25], v[26:27]
	v_add_f64 v[6:7], v[6:7], -v[10:11]
	v_add_f64 v[8:9], v[8:9], -v[4:5]
	;; [unrolled: 1-line block ×4, first 2 shown]
	v_add_f64 v[10:11], v[40:41], v[10:11]
	v_add_f64 v[4:5], v[42:43], v[4:5]
	v_mul_f64 v[26:27], v[18:19], s[6:7]
	v_mul_f64 v[34:35], v[34:35], s[6:7]
	;; [unrolled: 1-line block ×6, first 2 shown]
	v_add_f64 v[16:17], v[28:29], v[14:15]
	v_add_f64 v[18:19], v[30:31], v[24:25]
	v_mul_f64 v[48:49], v[6:7], s[10:11]
	v_mul_f64 v[50:51], v[8:9], s[10:11]
	v_fma_f64 v[20:21], v[20:21], s[4:5], v[26:27]
	v_fma_f64 v[28:29], v[32:33], s[4:5], v[34:35]
	v_fma_f64 v[30:31], v[36:37], s[16:17], -v[40:41]
	v_fma_f64 v[32:33], v[38:39], s[16:17], -v[42:43]
	s_mov_b32 s17, 0xbfe77f67
	v_fma_f64 v[40:41], v[22:23], s[18:19], v[44:45]
	v_fma_f64 v[42:43], v[12:13], s[18:19], v[46:47]
	s_mov_b32 s19, 0x3fd5d0dc
	v_fma_f64 v[14:15], v[14:15], s[12:13], v[16:17]
	v_fma_f64 v[24:25], v[24:25], s[12:13], v[18:19]
	v_fma_f64 v[6:7], v[6:7], s[10:11], -v[44:45]
	v_fma_f64 v[26:27], v[36:37], s[16:17], -v[26:27]
	;; [unrolled: 1-line block ×6, first 2 shown]
	v_fma_f64 v[36:37], v[10:11], s[20:21], v[40:41]
	v_fma_f64 v[38:39], v[4:5], s[20:21], v[42:43]
	v_add_f64 v[40:41], v[20:21], v[14:15]
	v_add_f64 v[42:43], v[28:29], v[24:25]
	v_fma_f64 v[6:7], v[10:11], s[20:21], v[6:7]
	v_fma_f64 v[10:11], v[10:11], s[20:21], v[22:23]
	;; [unrolled: 1-line block ×3, first 2 shown]
	v_add_f64 v[44:45], v[26:27], v[14:15]
	v_add_f64 v[34:35], v[34:35], v[24:25]
	v_fma_f64 v[8:9], v[4:5], s[20:21], v[8:9]
	v_add_f64 v[4:5], v[30:31], v[14:15]
	v_add_f64 v[14:15], v[32:33], v[24:25]
	;; [unrolled: 1-line block ×3, first 2 shown]
	v_add_f64 v[22:23], v[42:43], -v[36:37]
	v_add3_u32 v32, 0, v57, v72
	v_add_f64 v[24:25], v[12:13], v[44:45]
	v_add_f64 v[26:27], v[34:35], -v[10:11]
	v_add_f64 v[10:11], v[10:11], v[34:35]
	v_add_f64 v[28:29], v[4:5], -v[8:9]
	v_add_f64 v[30:31], v[6:7], v[14:15]
	v_add_f64 v[4:5], v[8:9], v[4:5]
	v_add_f64 v[6:7], v[14:15], -v[6:7]
	v_add_f64 v[8:9], v[44:45], -v[12:13]
	;; [unrolled: 1-line block ×3, first 2 shown]
	v_add_f64 v[14:15], v[36:37], v[42:43]
	ds_write_b128 v32, v[16:19]
	ds_write_b128 v32, v[20:23] offset:176
	ds_write_b128 v32, v[24:27] offset:352
	;; [unrolled: 1-line block ×6, first 2 shown]
	s_waitcnt lgkmcnt(0)
	; wave barrier
	s_waitcnt lgkmcnt(0)
	ds_read_b128 v[16:19], v112
	ds_read_b128 v[28:31], v112 offset:1232
	ds_read_b128 v[24:27], v112 offset:2464
	;; [unrolled: 1-line block ×3, first 2 shown]
	s_and_saveexec_b64 s[4:5], vcc
	s_cbranch_execz .LBB0_15
; %bb.14:
	ds_read_b128 v[4:7], v112 offset:704
	ds_read_b128 v[8:11], v112 offset:1936
	;; [unrolled: 1-line block ×4, first 2 shown]
.LBB0_15:
	s_or_b64 exec, exec, s[4:5]
	v_mul_u32_u24_e32 v32, 3, v56
	v_lshlrev_b32_e32 v44, 4, v32
	global_load_dwordx4 v[32:35], v44, s[8:9] offset:1056
	global_load_dwordx4 v[36:39], v44, s[8:9] offset:1072
	;; [unrolled: 1-line block ×3, first 2 shown]
	s_waitcnt lgkmcnt(0)
	; wave barrier
	s_waitcnt vmcnt(2) lgkmcnt(0)
	v_mul_f64 v[44:45], v[30:31], v[34:35]
	v_mul_f64 v[34:35], v[28:29], v[34:35]
	s_waitcnt vmcnt(1)
	v_mul_f64 v[46:47], v[26:27], v[38:39]
	v_mul_f64 v[38:39], v[24:25], v[38:39]
	s_waitcnt vmcnt(0)
	v_mul_f64 v[48:49], v[22:23], v[42:43]
	v_mul_f64 v[42:43], v[20:21], v[42:43]
	v_fma_f64 v[28:29], v[28:29], v[32:33], v[44:45]
	v_fma_f64 v[30:31], v[30:31], v[32:33], -v[34:35]
	v_fma_f64 v[24:25], v[24:25], v[36:37], v[46:47]
	v_fma_f64 v[26:27], v[26:27], v[36:37], -v[38:39]
	;; [unrolled: 2-line block ×3, first 2 shown]
	v_add_f64 v[24:25], v[16:17], -v[24:25]
	v_add_f64 v[26:27], v[18:19], -v[26:27]
	;; [unrolled: 1-line block ×4, first 2 shown]
	v_fma_f64 v[32:33], v[16:17], 2.0, -v[24:25]
	v_fma_f64 v[34:35], v[18:19], 2.0, -v[26:27]
	;; [unrolled: 1-line block ×4, first 2 shown]
	v_add_f64 v[16:17], v[24:25], v[22:23]
	v_add_f64 v[18:19], v[26:27], -v[20:21]
	v_add_f64 v[20:21], v[32:33], -v[28:29]
	;; [unrolled: 1-line block ×3, first 2 shown]
	v_fma_f64 v[24:25], v[24:25], 2.0, -v[16:17]
	v_fma_f64 v[26:27], v[26:27], 2.0, -v[18:19]
	;; [unrolled: 1-line block ×4, first 2 shown]
	ds_write_b128 v112, v[24:27] offset:1232
	ds_write_b128 v112, v[20:23] offset:2464
	ds_write_b128 v112, v[28:31]
	ds_write_b128 v112, v[16:19] offset:3696
	s_and_saveexec_b64 s[4:5], vcc
	s_cbranch_execz .LBB0_17
; %bb.16:
	v_add_u32_e32 v16, 44, v56
	v_subrev_u32_e32 v17, 33, v56
	v_cndmask_b32_e32 v16, v17, v16, vcc
	v_mul_i32_i24_e32 v16, 3, v16
	v_mov_b32_e32 v17, 0
	v_lshlrev_b64 v[16:17], 4, v[16:17]
	v_mov_b32_e32 v18, s9
	v_add_co_u32_e32 v28, vcc, s8, v16
	v_addc_co_u32_e32 v29, vcc, v18, v17, vcc
	global_load_dwordx4 v[16:19], v[28:29], off offset:1072
	global_load_dwordx4 v[20:23], v[28:29], off offset:1056
	;; [unrolled: 1-line block ×3, first 2 shown]
	s_waitcnt vmcnt(2)
	v_mul_f64 v[28:29], v[12:13], v[18:19]
	s_waitcnt vmcnt(1)
	v_mul_f64 v[30:31], v[10:11], v[22:23]
	v_mul_f64 v[22:23], v[8:9], v[22:23]
	s_waitcnt vmcnt(0)
	v_mul_f64 v[32:33], v[0:1], v[26:27]
	v_mul_f64 v[18:19], v[14:15], v[18:19]
	;; [unrolled: 1-line block ×3, first 2 shown]
	v_fma_f64 v[14:15], v[14:15], v[16:17], -v[28:29]
	v_fma_f64 v[8:9], v[8:9], v[20:21], v[30:31]
	v_fma_f64 v[10:11], v[10:11], v[20:21], -v[22:23]
	v_fma_f64 v[2:3], v[2:3], v[24:25], -v[32:33]
	v_fma_f64 v[12:13], v[12:13], v[16:17], v[18:19]
	v_fma_f64 v[0:1], v[0:1], v[24:25], v[26:27]
	v_add_f64 v[14:15], v[6:7], -v[14:15]
	v_add_f64 v[16:17], v[10:11], -v[2:3]
	;; [unrolled: 1-line block ×4, first 2 shown]
	v_fma_f64 v[18:19], v[6:7], 2.0, -v[14:15]
	v_fma_f64 v[6:7], v[10:11], 2.0, -v[16:17]
	;; [unrolled: 1-line block ×4, first 2 shown]
	v_add_f64 v[2:3], v[14:15], -v[0:1]
	v_add_f64 v[0:1], v[12:13], v[16:17]
	v_add_f64 v[6:7], v[18:19], -v[6:7]
	v_add_f64 v[4:5], v[20:21], -v[4:5]
	v_fma_f64 v[10:11], v[14:15], 2.0, -v[2:3]
	v_fma_f64 v[8:9], v[12:13], 2.0, -v[0:1]
	;; [unrolled: 1-line block ×4, first 2 shown]
	ds_write_b128 v112, v[8:11] offset:1936
	ds_write_b128 v112, v[4:7] offset:3168
	;; [unrolled: 1-line block ×4, first 2 shown]
.LBB0_17:
	s_or_b64 exec, exec, s[4:5]
	s_waitcnt lgkmcnt(0)
	; wave barrier
	s_waitcnt lgkmcnt(0)
	ds_read_b128 v[0:3], v112
	s_add_u32 s6, s8, 0x1290
	v_lshlrev_b32_e32 v4, 4, v56
	s_addc_u32 s7, s9, 0
	v_sub_u32_e32 v10, 0, v4
	v_cmp_ne_u32_e32 vcc, 0, v56
                                        ; implicit-def: $vgpr6_vgpr7
                                        ; implicit-def: $vgpr4_vgpr5
                                        ; implicit-def: $vgpr8_vgpr9
	s_and_saveexec_b64 s[4:5], vcc
	s_xor_b64 s[4:5], exec, s[4:5]
	s_cbranch_execz .LBB0_19
; %bb.18:
	v_mov_b32_e32 v57, 0
	v_lshlrev_b64 v[4:5], 4, v[56:57]
	v_mov_b32_e32 v6, s7
	v_add_co_u32_e32 v4, vcc, s6, v4
	v_addc_co_u32_e32 v5, vcc, v6, v5, vcc
	global_load_dwordx4 v[6:9], v[4:5], off
	ds_read_b128 v[11:14], v10 offset:4928
	s_waitcnt lgkmcnt(0)
	v_add_f64 v[4:5], v[0:1], -v[11:12]
	v_add_f64 v[15:16], v[2:3], v[13:14]
	v_add_f64 v[2:3], v[2:3], -v[13:14]
	v_add_f64 v[0:1], v[0:1], v[11:12]
	v_mul_f64 v[4:5], v[4:5], 0.5
	v_mul_f64 v[13:14], v[15:16], 0.5
	;; [unrolled: 1-line block ×3, first 2 shown]
	s_waitcnt vmcnt(0)
	v_mul_f64 v[11:12], v[4:5], v[8:9]
	v_fma_f64 v[15:16], v[13:14], v[8:9], v[2:3]
	v_fma_f64 v[2:3], v[13:14], v[8:9], -v[2:3]
	v_fma_f64 v[8:9], v[0:1], 0.5, v[11:12]
	v_fma_f64 v[0:1], v[0:1], 0.5, -v[11:12]
	v_fma_f64 v[11:12], -v[6:7], v[4:5], v[15:16]
	v_fma_f64 v[2:3], -v[6:7], v[4:5], v[2:3]
	ds_write_b64 v112, v[11:12] offset:8
	ds_write_b64 v10, v[2:3] offset:4936
	v_fma_f64 v[4:5], v[13:14], v[6:7], v[8:9]
	v_mov_b32_e32 v8, v56
	v_fma_f64 v[6:7], -v[13:14], v[6:7], v[0:1]
	v_mov_b32_e32 v9, v57
                                        ; implicit-def: $vgpr0_vgpr1
.LBB0_19:
	s_andn2_saveexec_b64 s[4:5], s[4:5]
	s_cbranch_execz .LBB0_21
; %bb.20:
	s_mov_b32 s8, 0
	s_mov_b32 s9, s8
	v_mov_b32_e32 v8, s8
	s_waitcnt lgkmcnt(0)
	v_add_f64 v[4:5], v[0:1], v[2:3]
	v_mov_b32_e32 v9, s9
	v_add_f64 v[6:7], v[0:1], -v[2:3]
	ds_write_b64 v112, v[8:9] offset:8
	ds_write_b64 v10, v[8:9] offset:4936
	v_mov_b32_e32 v2, 0
	ds_read_b64 v[0:1], v2 offset:2472
	v_mov_b32_e32 v8, 0
	v_mov_b32_e32 v9, 0
	s_waitcnt lgkmcnt(0)
	v_xor_b32_e32 v1, 0x80000000, v1
	ds_write_b64 v2, v[0:1] offset:2472
.LBB0_21:
	s_or_b64 exec, exec, s[4:5]
	s_waitcnt lgkmcnt(0)
	v_lshlrev_b64 v[0:1], 4, v[8:9]
	v_mov_b32_e32 v3, s7
	v_add_co_u32_e32 v2, vcc, s6, v0
	v_addc_co_u32_e32 v3, vcc, v3, v1, vcc
	global_load_dwordx4 v[11:14], v[2:3], off offset:704
	global_load_dwordx4 v[15:18], v[2:3], off offset:1408
	ds_write_b64 v112, v[4:5]
	ds_write_b64 v10, v[6:7] offset:4928
	ds_read_b128 v[4:7], v112 offset:704
	ds_read_b128 v[19:22], v10 offset:4224
	v_cmp_gt_u32_e32 vcc, 22, v56
	s_waitcnt lgkmcnt(0)
	v_add_f64 v[8:9], v[4:5], -v[19:20]
	v_add_f64 v[23:24], v[6:7], v[21:22]
	v_add_f64 v[6:7], v[6:7], -v[21:22]
	v_add_f64 v[4:5], v[4:5], v[19:20]
	v_mul_f64 v[8:9], v[8:9], 0.5
	v_mul_f64 v[21:22], v[23:24], 0.5
	;; [unrolled: 1-line block ×3, first 2 shown]
	s_waitcnt vmcnt(1)
	v_mul_f64 v[19:20], v[8:9], v[13:14]
	v_fma_f64 v[23:24], v[21:22], v[13:14], v[6:7]
	v_fma_f64 v[13:14], v[21:22], v[13:14], -v[6:7]
	v_fma_f64 v[25:26], v[4:5], 0.5, v[19:20]
	v_fma_f64 v[19:20], v[4:5], 0.5, -v[19:20]
	v_fma_f64 v[6:7], -v[11:12], v[8:9], v[23:24]
	v_fma_f64 v[13:14], -v[11:12], v[8:9], v[13:14]
	v_fma_f64 v[4:5], v[21:22], v[11:12], v[25:26]
	v_fma_f64 v[11:12], -v[21:22], v[11:12], v[19:20]
	ds_write_b128 v112, v[4:7] offset:704
	ds_write_b128 v10, v[11:14] offset:4224
	ds_read_b128 v[4:7], v112 offset:1408
	ds_read_b128 v[11:14], v10 offset:3520
	s_waitcnt lgkmcnt(0)
	v_add_f64 v[8:9], v[4:5], -v[11:12]
	v_add_f64 v[19:20], v[6:7], v[13:14]
	v_add_f64 v[6:7], v[6:7], -v[13:14]
	v_add_f64 v[4:5], v[4:5], v[11:12]
	v_mul_f64 v[8:9], v[8:9], 0.5
	v_mul_f64 v[19:20], v[19:20], 0.5
	;; [unrolled: 1-line block ×3, first 2 shown]
	s_waitcnt vmcnt(0)
	v_mul_f64 v[11:12], v[8:9], v[17:18]
	v_fma_f64 v[13:14], v[19:20], v[17:18], v[6:7]
	v_fma_f64 v[17:18], v[19:20], v[17:18], -v[6:7]
	v_fma_f64 v[21:22], v[4:5], 0.5, v[11:12]
	v_fma_f64 v[11:12], v[4:5], 0.5, -v[11:12]
	v_fma_f64 v[6:7], -v[15:16], v[8:9], v[13:14]
	v_fma_f64 v[13:14], -v[15:16], v[8:9], v[17:18]
	v_fma_f64 v[4:5], v[19:20], v[15:16], v[21:22]
	v_fma_f64 v[11:12], -v[19:20], v[15:16], v[11:12]
	ds_write_b128 v112, v[4:7] offset:1408
	ds_write_b128 v10, v[11:14] offset:3520
	s_and_saveexec_b64 s[4:5], vcc
	s_cbranch_execz .LBB0_23
; %bb.22:
	global_load_dwordx4 v[2:5], v[2:3], off offset:2112
	ds_read_b128 v[6:9], v112 offset:2112
	ds_read_b128 v[11:14], v10 offset:2816
	s_waitcnt lgkmcnt(0)
	v_add_f64 v[15:16], v[6:7], -v[11:12]
	v_add_f64 v[17:18], v[8:9], v[13:14]
	v_add_f64 v[8:9], v[8:9], -v[13:14]
	v_add_f64 v[6:7], v[6:7], v[11:12]
	v_mul_f64 v[13:14], v[15:16], 0.5
	v_mul_f64 v[15:16], v[17:18], 0.5
	v_mul_f64 v[8:9], v[8:9], 0.5
	s_waitcnt vmcnt(0)
	v_mul_f64 v[11:12], v[13:14], v[4:5]
	v_fma_f64 v[17:18], v[15:16], v[4:5], v[8:9]
	v_fma_f64 v[4:5], v[15:16], v[4:5], -v[8:9]
	v_fma_f64 v[8:9], v[6:7], 0.5, v[11:12]
	v_fma_f64 v[11:12], v[6:7], 0.5, -v[11:12]
	v_fma_f64 v[6:7], -v[2:3], v[13:14], v[17:18]
	v_fma_f64 v[13:14], -v[2:3], v[13:14], v[4:5]
	v_fma_f64 v[4:5], v[15:16], v[2:3], v[8:9]
	v_fma_f64 v[11:12], -v[15:16], v[2:3], v[11:12]
	ds_write_b128 v112, v[4:7] offset:2112
	ds_write_b128 v10, v[11:14] offset:2816
.LBB0_23:
	s_or_b64 exec, exec, s[4:5]
	s_waitcnt lgkmcnt(0)
	; wave barrier
	s_waitcnt lgkmcnt(0)
	s_and_saveexec_b64 s[4:5], s[0:1]
	s_cbranch_execz .LBB0_26
; %bb.24:
	ds_read_b128 v[4:7], v112
	ds_read_b128 v[8:11], v112 offset:704
	v_mov_b32_e32 v2, s3
	v_add_co_u32_e32 v3, vcc, s2, v58
	v_addc_co_u32_e32 v2, vcc, v2, v59, vcc
	v_add_co_u32_e32 v0, vcc, v3, v0
	v_addc_co_u32_e32 v1, vcc, v2, v1, vcc
	s_waitcnt lgkmcnt(1)
	global_store_dwordx4 v[0:1], v[4:7], off
	ds_read_b128 v[4:7], v112 offset:1408
	ds_read_b128 v[12:15], v112 offset:2112
	;; [unrolled: 1-line block ×4, first 2 shown]
	s_waitcnt lgkmcnt(4)
	global_store_dwordx4 v[0:1], v[8:11], off offset:704
	s_waitcnt lgkmcnt(3)
	global_store_dwordx4 v[0:1], v[4:7], off offset:1408
	;; [unrolled: 2-line block ×5, first 2 shown]
	ds_read_b128 v[4:7], v112 offset:4224
	v_add_co_u32_e32 v0, vcc, 0x1000, v0
	v_addc_co_u32_e32 v1, vcc, 0, v1, vcc
	v_cmp_eq_u32_e32 vcc, 43, v56
	s_waitcnt lgkmcnt(0)
	global_store_dwordx4 v[0:1], v[4:7], off offset:128
	s_and_b64 exec, exec, vcc
	s_cbranch_execz .LBB0_26
; %bb.25:
	v_mov_b32_e32 v0, 0
	ds_read_b128 v[4:7], v0 offset:4928
	v_add_co_u32_e32 v0, vcc, 0x1000, v3
	v_addc_co_u32_e32 v1, vcc, 0, v2, vcc
	s_waitcnt lgkmcnt(0)
	global_store_dwordx4 v[0:1], v[4:7], off offset:832
.LBB0_26:
	s_endpgm
	.section	.rodata,"a",@progbits
	.p2align	6, 0x0
	.amdhsa_kernel fft_rtc_back_len308_factors_11_7_4_wgs_44_tpt_44_dp_ip_CI_unitstride_sbrr_R2C_dirReg
		.amdhsa_group_segment_fixed_size 0
		.amdhsa_private_segment_fixed_size 0
		.amdhsa_kernarg_size 88
		.amdhsa_user_sgpr_count 6
		.amdhsa_user_sgpr_private_segment_buffer 1
		.amdhsa_user_sgpr_dispatch_ptr 0
		.amdhsa_user_sgpr_queue_ptr 0
		.amdhsa_user_sgpr_kernarg_segment_ptr 1
		.amdhsa_user_sgpr_dispatch_id 0
		.amdhsa_user_sgpr_flat_scratch_init 0
		.amdhsa_user_sgpr_private_segment_size 0
		.amdhsa_uses_dynamic_stack 0
		.amdhsa_system_sgpr_private_segment_wavefront_offset 0
		.amdhsa_system_sgpr_workgroup_id_x 1
		.amdhsa_system_sgpr_workgroup_id_y 0
		.amdhsa_system_sgpr_workgroup_id_z 0
		.amdhsa_system_sgpr_workgroup_info 0
		.amdhsa_system_vgpr_workitem_id 0
		.amdhsa_next_free_vgpr 145
		.amdhsa_next_free_sgpr 36
		.amdhsa_reserve_vcc 1
		.amdhsa_reserve_flat_scratch 0
		.amdhsa_float_round_mode_32 0
		.amdhsa_float_round_mode_16_64 0
		.amdhsa_float_denorm_mode_32 3
		.amdhsa_float_denorm_mode_16_64 3
		.amdhsa_dx10_clamp 1
		.amdhsa_ieee_mode 1
		.amdhsa_fp16_overflow 0
		.amdhsa_exception_fp_ieee_invalid_op 0
		.amdhsa_exception_fp_denorm_src 0
		.amdhsa_exception_fp_ieee_div_zero 0
		.amdhsa_exception_fp_ieee_overflow 0
		.amdhsa_exception_fp_ieee_underflow 0
		.amdhsa_exception_fp_ieee_inexact 0
		.amdhsa_exception_int_div_zero 0
	.end_amdhsa_kernel
	.text
.Lfunc_end0:
	.size	fft_rtc_back_len308_factors_11_7_4_wgs_44_tpt_44_dp_ip_CI_unitstride_sbrr_R2C_dirReg, .Lfunc_end0-fft_rtc_back_len308_factors_11_7_4_wgs_44_tpt_44_dp_ip_CI_unitstride_sbrr_R2C_dirReg
                                        ; -- End function
	.section	.AMDGPU.csdata,"",@progbits
; Kernel info:
; codeLenInByte = 7340
; NumSgprs: 40
; NumVgprs: 145
; ScratchSize: 0
; MemoryBound: 0
; FloatMode: 240
; IeeeMode: 1
; LDSByteSize: 0 bytes/workgroup (compile time only)
; SGPRBlocks: 4
; VGPRBlocks: 36
; NumSGPRsForWavesPerEU: 40
; NumVGPRsForWavesPerEU: 145
; Occupancy: 1
; WaveLimiterHint : 1
; COMPUTE_PGM_RSRC2:SCRATCH_EN: 0
; COMPUTE_PGM_RSRC2:USER_SGPR: 6
; COMPUTE_PGM_RSRC2:TRAP_HANDLER: 0
; COMPUTE_PGM_RSRC2:TGID_X_EN: 1
; COMPUTE_PGM_RSRC2:TGID_Y_EN: 0
; COMPUTE_PGM_RSRC2:TGID_Z_EN: 0
; COMPUTE_PGM_RSRC2:TIDIG_COMP_CNT: 0
	.type	__hip_cuid_bdd3353079dd58a8,@object ; @__hip_cuid_bdd3353079dd58a8
	.section	.bss,"aw",@nobits
	.globl	__hip_cuid_bdd3353079dd58a8
__hip_cuid_bdd3353079dd58a8:
	.byte	0                               ; 0x0
	.size	__hip_cuid_bdd3353079dd58a8, 1

	.ident	"AMD clang version 19.0.0git (https://github.com/RadeonOpenCompute/llvm-project roc-6.4.0 25133 c7fe45cf4b819c5991fe208aaa96edf142730f1d)"
	.section	".note.GNU-stack","",@progbits
	.addrsig
	.addrsig_sym __hip_cuid_bdd3353079dd58a8
	.amdgpu_metadata
---
amdhsa.kernels:
  - .args:
      - .actual_access:  read_only
        .address_space:  global
        .offset:         0
        .size:           8
        .value_kind:     global_buffer
      - .offset:         8
        .size:           8
        .value_kind:     by_value
      - .actual_access:  read_only
        .address_space:  global
        .offset:         16
        .size:           8
        .value_kind:     global_buffer
      - .actual_access:  read_only
        .address_space:  global
        .offset:         24
        .size:           8
        .value_kind:     global_buffer
      - .offset:         32
        .size:           8
        .value_kind:     by_value
      - .actual_access:  read_only
        .address_space:  global
        .offset:         40
        .size:           8
        .value_kind:     global_buffer
      - .actual_access:  read_only
        .address_space:  global
        .offset:         48
        .size:           8
        .value_kind:     global_buffer
      - .offset:         56
        .size:           4
        .value_kind:     by_value
      - .actual_access:  read_only
        .address_space:  global
        .offset:         64
        .size:           8
        .value_kind:     global_buffer
      - .actual_access:  read_only
        .address_space:  global
        .offset:         72
        .size:           8
        .value_kind:     global_buffer
      - .address_space:  global
        .offset:         80
        .size:           8
        .value_kind:     global_buffer
    .group_segment_fixed_size: 0
    .kernarg_segment_align: 8
    .kernarg_segment_size: 88
    .language:       OpenCL C
    .language_version:
      - 2
      - 0
    .max_flat_workgroup_size: 44
    .name:           fft_rtc_back_len308_factors_11_7_4_wgs_44_tpt_44_dp_ip_CI_unitstride_sbrr_R2C_dirReg
    .private_segment_fixed_size: 0
    .sgpr_count:     40
    .sgpr_spill_count: 0
    .symbol:         fft_rtc_back_len308_factors_11_7_4_wgs_44_tpt_44_dp_ip_CI_unitstride_sbrr_R2C_dirReg.kd
    .uniform_work_group_size: 1
    .uses_dynamic_stack: false
    .vgpr_count:     145
    .vgpr_spill_count: 0
    .wavefront_size: 64
amdhsa.target:   amdgcn-amd-amdhsa--gfx906
amdhsa.version:
  - 1
  - 2
...

	.end_amdgpu_metadata
